;; amdgpu-corpus repo=ROCm/rocFFT kind=compiled arch=gfx1201 opt=O3
	.text
	.amdgcn_target "amdgcn-amd-amdhsa--gfx1201"
	.amdhsa_code_object_version 6
	.protected	fft_rtc_back_len208_factors_13_8_2_wgs_234_tpt_26_dim3_dp_ip_CI_sbcc_twdbase8_2step_dirReg ; -- Begin function fft_rtc_back_len208_factors_13_8_2_wgs_234_tpt_26_dim3_dp_ip_CI_sbcc_twdbase8_2step_dirReg
	.globl	fft_rtc_back_len208_factors_13_8_2_wgs_234_tpt_26_dim3_dp_ip_CI_sbcc_twdbase8_2step_dirReg
	.p2align	8
	.type	fft_rtc_back_len208_factors_13_8_2_wgs_234_tpt_26_dim3_dp_ip_CI_sbcc_twdbase8_2step_dirReg,@function
fft_rtc_back_len208_factors_13_8_2_wgs_234_tpt_26_dim3_dp_ip_CI_sbcc_twdbase8_2step_dirReg: ; @fft_rtc_back_len208_factors_13_8_2_wgs_234_tpt_26_dim3_dp_ip_CI_sbcc_twdbase8_2step_dirReg
; %bb.0:
	s_load_b128 s[8:11], s[0:1], 0x10
	s_mov_b32 s13, 0
	s_mov_b32 s2, 0x71c4fc00
	s_movk_i32 s3, 0x7c
	s_mov_b32 s12, s13
	s_delay_alu instid0(SALU_CYCLE_1) | instskip(NEXT) | instid1(SALU_CYCLE_1)
	s_add_nc_u64 s[2:3], s[12:13], s[2:3]
	s_add_co_i32 s3, s3, 0x1c71c6a0
	s_delay_alu instid0(SALU_CYCLE_1) | instskip(NEXT) | instid1(SALU_CYCLE_1)
	s_mul_u64 s[4:5], s[2:3], -9
	s_mul_hi_u32 s7, s2, s5
	s_mul_i32 s6, s2, s5
	s_mul_hi_u32 s12, s2, s4
	s_mul_i32 s17, s3, s4
	s_add_nc_u64 s[6:7], s[12:13], s[6:7]
	s_mul_hi_u32 s16, s3, s4
	s_mul_hi_u32 s18, s3, s5
	s_mul_i32 s4, s3, s5
	s_wait_kmcnt 0x0
	s_load_b64 s[14:15], s[8:9], 0x8
	s_add_co_u32 s5, s6, s17
	s_add_co_ci_u32 s12, s7, s16
	s_add_co_ci_u32 s5, s18, 0
	s_delay_alu instid0(SALU_CYCLE_1) | instskip(NEXT) | instid1(SALU_CYCLE_1)
	s_add_nc_u64 s[4:5], s[12:13], s[4:5]
	v_add_co_u32 v1, s2, s2, s4
	s_delay_alu instid0(VALU_DEP_1) | instskip(SKIP_1) | instid1(VALU_DEP_1)
	s_cmp_lg_u32 s2, 0
	s_add_co_ci_u32 s6, s3, s5
	v_readfirstlane_b32 s7, v1
	s_wait_kmcnt 0x0
	s_add_nc_u64 s[2:3], s[14:15], -1
	s_wait_alu 0xfffe
	s_mul_hi_u32 s5, s2, s6
	s_mul_i32 s4, s2, s6
	s_mul_hi_u32 s12, s2, s7
	s_mul_hi_u32 s17, s3, s7
	s_mul_i32 s7, s3, s7
	s_wait_alu 0xfffe
	s_add_nc_u64 s[4:5], s[12:13], s[4:5]
	s_mul_hi_u32 s16, s3, s6
	s_wait_alu 0xfffe
	s_add_co_u32 s4, s4, s7
	s_add_co_ci_u32 s12, s5, s17
	s_mul_i32 s6, s3, s6
	s_add_co_ci_u32 s7, s16, 0
	s_delay_alu instid0(SALU_CYCLE_1) | instskip(SKIP_2) | instid1(SALU_CYCLE_1)
	s_add_nc_u64 s[4:5], s[12:13], s[6:7]
	s_wait_alu 0xfffe
	s_mul_u64 s[6:7], s[4:5], 9
	v_sub_co_u32 v1, s2, s2, s6
	s_delay_alu instid0(VALU_DEP_1) | instskip(SKIP_1) | instid1(VALU_DEP_1)
	s_cmp_lg_u32 s2, 0
	s_sub_co_ci_u32 s12, s3, s7
	v_sub_co_u32 v2, s6, v1, 9
	s_delay_alu instid0(VALU_DEP_1) | instskip(SKIP_2) | instid1(VALU_DEP_2)
	s_cmp_lg_u32 s6, 0
	v_readfirstlane_b32 s17, v1
	s_sub_co_ci_u32 s6, s12, 0
	v_readfirstlane_b32 s2, v2
	s_delay_alu instid0(VALU_DEP_1)
	s_cmp_gt_u32 s2, 8
	s_add_nc_u64 s[2:3], s[4:5], 1
	s_cselect_b32 s16, -1, 0
	s_wait_alu 0xfffe
	s_cmp_eq_u32 s6, 0
	s_add_nc_u64 s[6:7], s[4:5], 2
	s_cselect_b32 s16, s16, -1
	s_delay_alu instid0(SALU_CYCLE_1)
	s_cmp_lg_u32 s16, 0
	s_wait_alu 0xfffe
	s_cselect_b32 s2, s6, s2
	s_cselect_b32 s3, s7, s3
	s_cmp_gt_u32 s17, 8
	s_mov_b64 s[16:17], 0
	s_cselect_b32 s6, -1, 0
	s_cmp_eq_u32 s12, 0
	s_mov_b32 s12, ttmp9
	s_wait_alu 0xfffe
	s_cselect_b32 s6, s6, -1
	s_wait_alu 0xfffe
	s_cmp_lg_u32 s6, 0
	s_cselect_b32 s3, s3, s5
	s_cselect_b32 s2, s2, s4
	s_wait_alu 0xfffe
	s_add_nc_u64 s[2:3], s[2:3], 1
	s_wait_alu 0xfffe
	v_cmp_lt_u64_e64 s4, s[12:13], s[2:3]
	s_delay_alu instid0(VALU_DEP_1)
	s_and_b32 vcc_lo, exec_lo, s4
	s_cbranch_vccnz .LBB0_2
; %bb.1:
	v_cvt_f32_u32_e32 v1, s2
	s_sub_co_i32 s5, 0, s2
	s_mov_b32 s17, s13
	s_delay_alu instid0(VALU_DEP_1) | instskip(NEXT) | instid1(TRANS32_DEP_1)
	v_rcp_iflag_f32_e32 v1, v1
	v_mul_f32_e32 v1, 0x4f7ffffe, v1
	s_delay_alu instid0(VALU_DEP_1) | instskip(NEXT) | instid1(VALU_DEP_1)
	v_cvt_u32_f32_e32 v1, v1
	v_readfirstlane_b32 s4, v1
	s_wait_alu 0xfffe
	s_delay_alu instid0(VALU_DEP_1)
	s_mul_i32 s5, s5, s4
	s_wait_alu 0xfffe
	s_mul_hi_u32 s5, s4, s5
	s_wait_alu 0xfffe
	s_add_co_i32 s4, s4, s5
	s_wait_alu 0xfffe
	s_mul_hi_u32 s4, s12, s4
	s_wait_alu 0xfffe
	s_mul_i32 s5, s4, s2
	s_add_co_i32 s6, s4, 1
	s_wait_alu 0xfffe
	s_sub_co_i32 s5, s12, s5
	s_wait_alu 0xfffe
	s_sub_co_i32 s7, s5, s2
	s_cmp_ge_u32 s5, s2
	s_cselect_b32 s4, s6, s4
	s_wait_alu 0xfffe
	s_cselect_b32 s5, s7, s5
	s_add_co_i32 s6, s4, 1
	s_wait_alu 0xfffe
	s_cmp_ge_u32 s5, s2
	s_cselect_b32 s16, s6, s4
.LBB0_2:
	s_load_b64 s[8:9], s[8:9], 0x10
	s_mov_b64 s[18:19], s[16:17]
	s_wait_kmcnt 0x0
	v_cmp_lt_u64_e64 s4, s[16:17], s[8:9]
	s_delay_alu instid0(VALU_DEP_1)
	s_and_b32 vcc_lo, exec_lo, s4
	s_cbranch_vccnz .LBB0_4
; %bb.3:
	v_cvt_f32_u32_e32 v1, s8
	s_sub_co_i32 s5, 0, s8
	s_mov_b32 s19, 0
	s_delay_alu instid0(VALU_DEP_1) | instskip(NEXT) | instid1(TRANS32_DEP_1)
	v_rcp_iflag_f32_e32 v1, v1
	v_mul_f32_e32 v1, 0x4f7ffffe, v1
	s_delay_alu instid0(VALU_DEP_1) | instskip(NEXT) | instid1(VALU_DEP_1)
	v_cvt_u32_f32_e32 v1, v1
	v_readfirstlane_b32 s4, v1
	s_wait_alu 0xfffe
	s_delay_alu instid0(VALU_DEP_1)
	s_mul_i32 s5, s5, s4
	s_wait_alu 0xfffe
	s_mul_hi_u32 s5, s4, s5
	s_wait_alu 0xfffe
	s_add_co_i32 s4, s4, s5
	s_wait_alu 0xfffe
	s_mul_hi_u32 s4, s16, s4
	s_wait_alu 0xfffe
	s_mul_i32 s4, s4, s8
	s_wait_alu 0xfffe
	s_sub_co_i32 s4, s16, s4
	s_wait_alu 0xfffe
	s_sub_co_i32 s5, s4, s8
	s_cmp_ge_u32 s4, s8
	s_wait_alu 0xfffe
	s_cselect_b32 s4, s5, s4
	s_wait_alu 0xfffe
	s_sub_co_i32 s5, s4, s8
	s_cmp_ge_u32 s4, s8
	s_wait_alu 0xfffe
	s_cselect_b32 s18, s5, s4
.LBB0_4:
	s_clause 0x1
	s_load_b128 s[4:7], s[10:11], 0x0
	s_load_b64 s[20:21], s[10:11], 0x10
	s_mul_u64 s[8:9], s[8:9], s[2:3]
	s_mov_b64 s[22:23], 0
	s_wait_alu 0xfffe
	v_cmp_lt_u64_e64 s9, s[12:13], s[8:9]
	s_delay_alu instid0(VALU_DEP_1)
	s_and_b32 vcc_lo, exec_lo, s9
	s_cbranch_vccnz .LBB0_6
; %bb.5:
	v_cvt_f32_u32_e32 v1, s8
	s_sub_co_i32 s22, 0, s8
	s_delay_alu instid0(VALU_DEP_1) | instskip(NEXT) | instid1(TRANS32_DEP_1)
	v_rcp_iflag_f32_e32 v1, v1
	v_mul_f32_e32 v1, 0x4f7ffffe, v1
	s_delay_alu instid0(VALU_DEP_1) | instskip(NEXT) | instid1(VALU_DEP_1)
	v_cvt_u32_f32_e32 v1, v1
	v_readfirstlane_b32 s9, v1
	s_delay_alu instid0(VALU_DEP_1) | instskip(NEXT) | instid1(SALU_CYCLE_1)
	s_mul_i32 s22, s22, s9
	s_mul_hi_u32 s22, s9, s22
	s_delay_alu instid0(SALU_CYCLE_1)
	s_add_co_i32 s9, s9, s22
	s_wait_alu 0xfffe
	s_mul_hi_u32 s9, s12, s9
	s_wait_alu 0xfffe
	s_mul_i32 s22, s9, s8
	s_add_co_i32 s23, s9, 1
	s_sub_co_i32 s22, s12, s22
	s_delay_alu instid0(SALU_CYCLE_1)
	s_sub_co_i32 s24, s22, s8
	s_cmp_ge_u32 s22, s8
	s_cselect_b32 s9, s23, s9
	s_cselect_b32 s22, s24, s22
	s_wait_alu 0xfffe
	s_add_co_i32 s24, s9, 1
	s_cmp_ge_u32 s22, s8
	s_mov_b32 s23, 0
	s_cselect_b32 s22, s24, s9
.LBB0_6:
	v_mul_u32_u24_e32 v1, 0x1c72, v0
	s_load_b64 s[10:11], s[10:11], 0x18
	s_load_b64 s[8:9], s[0:1], 0x50
	s_mul_u64 s[16:17], s[16:17], s[2:3]
	s_wait_kmcnt 0x0
	s_mul_u64 s[18:19], s[20:21], s[18:19]
	v_lshrrev_b32_e32 v73, 16, v1
                                        ; kill: def $vgpr1_vgpr2 killed $sgpr0_sgpr1 killed $exec
	s_wait_alu 0xfffe
	s_sub_nc_u64 s[12:13], s[12:13], s[16:17]
	v_cmp_gt_u32_e64 s2, 0x90, v0
	s_wait_alu 0xfffe
	s_mul_u64 s[16:17], s[12:13], 9
                                        ; implicit-def: $vgpr51_vgpr52
                                        ; implicit-def: $vgpr47_vgpr48
                                        ; implicit-def: $vgpr39_vgpr40
                                        ; implicit-def: $vgpr35_vgpr36
                                        ; implicit-def: $vgpr7_vgpr8
                                        ; implicit-def: $vgpr11_vgpr12
                                        ; implicit-def: $vgpr15_vgpr16
                                        ; implicit-def: $vgpr23_vgpr24
                                        ; implicit-def: $vgpr27_vgpr28
                                        ; implicit-def: $vgpr31_vgpr32
                                        ; implicit-def: $vgpr19_vgpr20
                                        ; implicit-def: $vgpr43_vgpr44
                                        ; implicit-def: $vgpr3_vgpr4
	s_wait_alu 0xfffe
	s_add_nc_u64 s[20:21], s[16:17], 9
	v_mul_lo_u16 v1, v73, 9
	v_cmp_le_u64_e64 s33, s[20:21], s[14:15]
	s_mul_u64 s[12:13], s[6:7], s[16:17]
	v_add_nc_u32_e32 v65, 16, v73
	v_or_b32_e32 v66, 32, v73
	v_sub_nc_u16 v1, v0, v1
	v_add_nc_u32_e32 v64, 48, v73
	v_or_b32_e32 v62, 64, v73
	v_add_nc_u32_e32 v63, 0x50, v73
	v_or_b32_e32 v60, 0x60, v73
	v_and_b32_e32 v72, 0xffff, v1
	v_add_nc_u32_e32 v61, 0x70, v73
	v_or_b32_e32 v59, 0x80, v73
	v_add_nc_u32_e32 v57, 0x90, v73
	v_or_b32_e32 v58, 0xa0, v73
	v_add_nc_u32_e32 v56, 0xb0, v73
	v_or_b32_e32 v55, 0xc0, v73
	s_wait_alu 0xfffe
	s_add_nc_u64 s[12:13], s[18:19], s[12:13]
	s_mul_u64 s[10:11], s[10:11], s[22:23]
	s_wait_alu 0xfffe
	s_add_nc_u64 s[10:11], s[10:11], s[12:13]
	s_and_b32 s12, s2, s33
	s_wait_alu 0xfffe
	s_and_saveexec_b32 s3, s12
	s_cbranch_execz .LBB0_8
; %bb.7:
	v_mad_co_u64_u32 v[1:2], null, s6, v72, 0
	v_mad_co_u64_u32 v[3:4], null, s4, v73, 0
	;; [unrolled: 1-line block ×4, first 2 shown]
	s_lshl_b64 s[12:13], s[10:11], 4
	v_mad_co_u64_u32 v[21:22], null, s4, v60, 0
	s_delay_alu instid0(VALU_DEP_4)
	v_mad_co_u64_u32 v[9:10], null, s7, v72, v[2:3]
	v_mad_co_u64_u32 v[10:11], null, s4, v64, 0
	;; [unrolled: 1-line block ×3, first 2 shown]
	s_wait_alu 0xfffe
	s_add_nc_u64 s[12:13], s[8:9], s[12:13]
	v_mad_co_u64_u32 v[23:24], null, s4, v61, 0
	s_delay_alu instid0(VALU_DEP_3) | instskip(NEXT) | instid1(VALU_DEP_1)
	v_dual_mov_b32 v2, v9 :: v_dual_mov_b32 v9, v11
	v_lshlrev_b64_e32 v[1:2], 4, v[1:2]
	s_wait_alu 0xfffe
	s_delay_alu instid0(VALU_DEP_1) | instskip(NEXT) | instid1(VALU_DEP_2)
	v_add_co_u32 v27, vcc_lo, s12, v1
	v_add_co_ci_u32_e32 v28, vcc_lo, s13, v2, vcc_lo
	v_mad_co_u64_u32 v[1:2], null, s5, v64, v[9:10]
	v_mov_b32_e32 v4, v12
	v_mad_co_u64_u32 v[11:12], null, s5, v65, v[6:7]
	v_mad_co_u64_u32 v[12:13], null, s5, v66, v[8:9]
	s_delay_alu instid0(VALU_DEP_2) | instskip(NEXT) | instid1(VALU_DEP_4)
	v_dual_mov_b32 v6, v11 :: v_dual_mov_b32 v11, v1
	v_lshlrev_b64_e32 v[3:4], 4, v[3:4]
	s_delay_alu instid0(VALU_DEP_3) | instskip(SKIP_1) | instid1(VALU_DEP_3)
	v_mov_b32_e32 v8, v12
	v_mad_co_u64_u32 v[12:13], null, s4, v63, 0
	v_add_co_u32 v2, vcc_lo, v27, v3
	s_wait_alu 0xfffd
	s_delay_alu instid0(VALU_DEP_4) | instskip(SKIP_3) | instid1(VALU_DEP_3)
	v_add_co_ci_u32_e32 v3, vcc_lo, v28, v4, vcc_lo
	v_lshlrev_b64_e32 v[4:5], 4, v[5:6]
	v_lshlrev_b64_e32 v[6:7], 4, v[7:8]
	v_mad_co_u64_u32 v[8:9], null, s4, v62, 0
	v_add_co_u32 v14, vcc_lo, v27, v4
	s_wait_alu 0xfffd
	s_delay_alu instid0(VALU_DEP_4)
	v_add_co_ci_u32_e32 v15, vcc_lo, v28, v5, vcc_lo
	v_lshlrev_b64_e32 v[4:5], 4, v[10:11]
	v_add_co_u32 v6, vcc_lo, v27, v6
	s_wait_alu 0xfffd
	v_add_co_ci_u32_e32 v7, vcc_lo, v28, v7, vcc_lo
	v_mov_b32_e32 v1, v9
	v_mov_b32_e32 v9, v13
	v_add_co_u32 v10, vcc_lo, v27, v4
	s_wait_alu 0xfffd
	v_add_co_ci_u32_e32 v11, vcc_lo, v28, v5, vcc_lo
	v_mad_co_u64_u32 v[16:17], null, s5, v62, v[1:2]
	s_delay_alu instid0(VALU_DEP_3)
	v_mad_co_u64_u32 v[17:18], null, s5, v63, v[9:10]
	s_clause 0x3
	global_load_b128 v[1:4], v[2:3], off
	global_load_b128 v[49:52], v[14:15], off
	;; [unrolled: 1-line block ×4, first 2 shown]
	v_mov_b32_e32 v5, v22
	v_mov_b32_e32 v9, v16
	v_mad_co_u64_u32 v[15:16], null, s4, v58, 0
	v_mov_b32_e32 v13, v17
	s_delay_alu instid0(VALU_DEP_3) | instskip(SKIP_1) | instid1(VALU_DEP_3)
	v_lshlrev_b64_e32 v[6:7], 4, v[8:9]
	v_mov_b32_e32 v8, v24
	v_lshlrev_b64_e32 v[9:10], 4, v[12:13]
	s_delay_alu instid0(VALU_DEP_3) | instskip(SKIP_1) | instid1(VALU_DEP_3)
	v_mad_co_u64_u32 v[11:12], null, s5, v60, v[5:6]
	v_add_co_u32 v5, vcc_lo, v27, v6
	v_mad_co_u64_u32 v[12:13], null, s5, v61, v[8:9]
	v_mad_co_u64_u32 v[13:14], null, s4, v59, 0
	s_delay_alu instid0(VALU_DEP_4)
	v_mov_b32_e32 v22, v11
	s_wait_alu 0xfffd
	v_add_co_ci_u32_e32 v6, vcc_lo, v28, v7, vcc_lo
	v_add_co_u32 v7, vcc_lo, v27, v9
	s_wait_alu 0xfffd
	v_add_co_ci_u32_e32 v8, vcc_lo, v28, v10, vcc_lo
	v_dual_mov_b32 v9, v14 :: v_dual_mov_b32 v24, v12
	s_clause 0x1
	global_load_b128 v[37:40], v[5:6], off
	global_load_b128 v[17:20], v[7:8], off
	v_lshlrev_b64_e32 v[5:6], 4, v[21:22]
	v_mad_co_u64_u32 v[21:22], null, s4, v56, 0
	v_mad_co_u64_u32 v[9:10], null, s5, v59, v[9:10]
	v_lshlrev_b64_e32 v[7:8], 4, v[23:24]
	s_delay_alu instid0(VALU_DEP_4) | instskip(SKIP_3) | instid1(VALU_DEP_4)
	v_add_co_u32 v5, vcc_lo, v27, v5
	v_mad_co_u64_u32 v[10:11], null, s4, v57, 0
	s_wait_alu 0xfffd
	v_add_co_ci_u32_e32 v6, vcc_lo, v28, v6, vcc_lo
	v_add_co_u32 v7, vcc_lo, v27, v7
	v_mov_b32_e32 v14, v9
	s_wait_alu 0xfffd
	v_add_co_ci_u32_e32 v8, vcc_lo, v28, v8, vcc_lo
	v_mov_b32_e32 v9, v11
	s_clause 0x1
	global_load_b128 v[33:36], v[5:6], off
	global_load_b128 v[29:32], v[7:8], off
	v_lshlrev_b64_e32 v[6:7], 4, v[13:14]
	v_mov_b32_e32 v5, v22
	v_mad_co_u64_u32 v[23:24], null, s5, v57, v[9:10]
	s_delay_alu instid0(VALU_DEP_2) | instskip(SKIP_4) | instid1(VALU_DEP_4)
	v_mad_co_u64_u32 v[8:9], null, s5, v56, v[5:6]
	v_mov_b32_e32 v11, v16
	v_add_co_u32 v6, vcc_lo, v27, v6
	s_wait_alu 0xfffd
	v_add_co_ci_u32_e32 v7, vcc_lo, v28, v7, vcc_lo
	v_mov_b32_e32 v22, v8
	v_mad_co_u64_u32 v[24:25], null, s5, v58, v[11:12]
	v_mad_co_u64_u32 v[25:26], null, s4, v55, 0
	s_delay_alu instid0(VALU_DEP_2) | instskip(NEXT) | instid1(VALU_DEP_1)
	v_dual_mov_b32 v11, v23 :: v_dual_mov_b32 v16, v24
	v_lshlrev_b64_e32 v[9:10], 4, v[10:11]
	s_delay_alu instid0(VALU_DEP_3) | instskip(NEXT) | instid1(VALU_DEP_1)
	v_mov_b32_e32 v5, v26
	v_mad_co_u64_u32 v[11:12], null, s5, v55, v[5:6]
	s_delay_alu instid0(VALU_DEP_4) | instskip(NEXT) | instid1(VALU_DEP_4)
	v_lshlrev_b64_e32 v[12:13], 4, v[15:16]
	v_add_co_u32 v8, vcc_lo, v27, v9
	s_wait_alu 0xfffd
	v_add_co_ci_u32_e32 v9, vcc_lo, v28, v10, vcc_lo
	v_lshlrev_b64_e32 v[14:15], 4, v[21:22]
	v_mov_b32_e32 v26, v11
	v_add_co_u32 v10, vcc_lo, v27, v12
	s_wait_alu 0xfffd
	v_add_co_ci_u32_e32 v11, vcc_lo, v28, v13, vcc_lo
	s_delay_alu instid0(VALU_DEP_3) | instskip(SKIP_3) | instid1(VALU_DEP_3)
	v_lshlrev_b64_e32 v[12:13], 4, v[25:26]
	v_add_co_u32 v53, vcc_lo, v27, v14
	s_wait_alu 0xfffd
	v_add_co_ci_u32_e32 v54, vcc_lo, v28, v15, vcc_lo
	v_add_co_u32 v67, vcc_lo, v27, v12
	s_wait_alu 0xfffd
	v_add_co_ci_u32_e32 v68, vcc_lo, v28, v13, vcc_lo
	s_clause 0x4
	global_load_b128 v[25:28], v[6:7], off
	global_load_b128 v[21:24], v[8:9], off
	;; [unrolled: 1-line block ×5, first 2 shown]
.LBB0_8:
	s_wait_alu 0xfffe
	s_or_b32 exec_lo, exec_lo, s3
	s_load_b64 s[12:13], s[0:1], 0x0
	v_add_co_u32 v53, s3, s16, v72
	s_wait_alu 0xf1ff
	v_add_co_ci_u32_e64 v54, null, s17, 0, s3
	s_xor_b32 s3, s33, -1
	s_delay_alu instid0(VALU_DEP_1)
	v_cmp_gt_u64_e32 vcc_lo, s[14:15], v[53:54]
	s_and_b32 s14, s2, vcc_lo
	s_wait_alu 0xfffe
	s_and_b32 s3, s3, s14
	s_wait_alu 0xfffe
	s_and_saveexec_b32 s14, s3
	s_cbranch_execz .LBB0_10
; %bb.9:
	s_wait_loadcnt 0xc
	v_mad_co_u64_u32 v[1:2], null, s6, v72, 0
	v_mad_co_u64_u32 v[3:4], null, s4, v73, 0
	s_wait_loadcnt 0x0
	v_mad_co_u64_u32 v[5:6], null, s4, v65, 0
	v_mad_co_u64_u32 v[7:8], null, s4, v66, 0
	s_lshl_b64 s[16:17], s[10:11], 4
	v_mad_co_u64_u32 v[21:22], null, s4, v60, 0
	s_delay_alu instid0(VALU_DEP_4)
	v_mad_co_u64_u32 v[9:10], null, s7, v72, v[2:3]
	v_mad_co_u64_u32 v[10:11], null, s4, v64, 0
	;; [unrolled: 1-line block ×3, first 2 shown]
	s_wait_alu 0xfffe
	s_add_nc_u64 s[16:17], s[8:9], s[16:17]
	v_mad_co_u64_u32 v[23:24], null, s4, v61, 0
	s_delay_alu instid0(VALU_DEP_3) | instskip(NEXT) | instid1(VALU_DEP_1)
	v_dual_mov_b32 v2, v9 :: v_dual_mov_b32 v9, v11
	v_lshlrev_b64_e32 v[1:2], 4, v[1:2]
	s_wait_alu 0xfffe
	s_delay_alu instid0(VALU_DEP_1) | instskip(SKIP_1) | instid1(VALU_DEP_2)
	v_add_co_u32 v27, s3, s16, v1
	s_wait_alu 0xf1ff
	v_add_co_ci_u32_e64 v28, s3, s17, v2, s3
	v_mad_co_u64_u32 v[1:2], null, s5, v64, v[9:10]
	v_mov_b32_e32 v4, v12
	v_mad_co_u64_u32 v[11:12], null, s5, v65, v[6:7]
	v_mad_co_u64_u32 v[12:13], null, s5, v66, v[8:9]
	s_delay_alu instid0(VALU_DEP_2) | instskip(NEXT) | instid1(VALU_DEP_4)
	v_dual_mov_b32 v6, v11 :: v_dual_mov_b32 v11, v1
	v_lshlrev_b64_e32 v[3:4], 4, v[3:4]
	s_delay_alu instid0(VALU_DEP_3) | instskip(SKIP_1) | instid1(VALU_DEP_3)
	v_mov_b32_e32 v8, v12
	v_mad_co_u64_u32 v[12:13], null, s4, v63, 0
	v_add_co_u32 v2, s3, v27, v3
	s_wait_alu 0xf1ff
	s_delay_alu instid0(VALU_DEP_4) | instskip(SKIP_3) | instid1(VALU_DEP_3)
	v_add_co_ci_u32_e64 v3, s3, v28, v4, s3
	v_lshlrev_b64_e32 v[4:5], 4, v[5:6]
	v_lshlrev_b64_e32 v[6:7], 4, v[7:8]
	v_mad_co_u64_u32 v[8:9], null, s4, v62, 0
	v_add_co_u32 v14, s3, v27, v4
	s_wait_alu 0xf1ff
	s_delay_alu instid0(VALU_DEP_4)
	v_add_co_ci_u32_e64 v15, s3, v28, v5, s3
	v_lshlrev_b64_e32 v[4:5], 4, v[10:11]
	v_add_co_u32 v6, s3, v27, v6
	s_wait_alu 0xf1ff
	v_add_co_ci_u32_e64 v7, s3, v28, v7, s3
	v_mov_b32_e32 v1, v9
	v_mov_b32_e32 v9, v13
	v_add_co_u32 v10, s3, v27, v4
	s_wait_alu 0xf1ff
	v_add_co_ci_u32_e64 v11, s3, v28, v5, s3
	v_mad_co_u64_u32 v[16:17], null, s5, v62, v[1:2]
	s_delay_alu instid0(VALU_DEP_3)
	v_mad_co_u64_u32 v[17:18], null, s5, v63, v[9:10]
	s_clause 0x3
	global_load_b128 v[1:4], v[2:3], off
	global_load_b128 v[49:52], v[14:15], off
	;; [unrolled: 1-line block ×4, first 2 shown]
	v_mov_b32_e32 v5, v22
	v_mov_b32_e32 v9, v16
	v_mad_co_u64_u32 v[15:16], null, s4, v58, 0
	v_mov_b32_e32 v13, v17
	s_delay_alu instid0(VALU_DEP_3) | instskip(SKIP_1) | instid1(VALU_DEP_3)
	v_lshlrev_b64_e32 v[6:7], 4, v[8:9]
	v_mov_b32_e32 v8, v24
	v_lshlrev_b64_e32 v[9:10], 4, v[12:13]
	s_delay_alu instid0(VALU_DEP_3) | instskip(SKIP_1) | instid1(VALU_DEP_3)
	v_mad_co_u64_u32 v[11:12], null, s5, v60, v[5:6]
	v_add_co_u32 v5, s3, v27, v6
	v_mad_co_u64_u32 v[12:13], null, s5, v61, v[8:9]
	v_mad_co_u64_u32 v[13:14], null, s4, v59, 0
	s_delay_alu instid0(VALU_DEP_4)
	v_mov_b32_e32 v22, v11
	s_wait_alu 0xf1ff
	v_add_co_ci_u32_e64 v6, s3, v28, v7, s3
	v_add_co_u32 v7, s3, v27, v9
	s_wait_alu 0xf1ff
	v_add_co_ci_u32_e64 v8, s3, v28, v10, s3
	v_dual_mov_b32 v9, v14 :: v_dual_mov_b32 v24, v12
	s_clause 0x1
	global_load_b128 v[37:40], v[5:6], off
	global_load_b128 v[17:20], v[7:8], off
	v_lshlrev_b64_e32 v[5:6], 4, v[21:22]
	v_mad_co_u64_u32 v[21:22], null, s4, v56, 0
	v_mad_co_u64_u32 v[9:10], null, s5, v59, v[9:10]
	v_lshlrev_b64_e32 v[7:8], 4, v[23:24]
	s_delay_alu instid0(VALU_DEP_4) | instskip(SKIP_3) | instid1(VALU_DEP_4)
	v_add_co_u32 v5, s3, v27, v5
	v_mad_co_u64_u32 v[10:11], null, s4, v57, 0
	s_wait_alu 0xf1ff
	v_add_co_ci_u32_e64 v6, s3, v28, v6, s3
	v_add_co_u32 v7, s3, v27, v7
	v_mov_b32_e32 v14, v9
	s_wait_alu 0xf1ff
	v_add_co_ci_u32_e64 v8, s3, v28, v8, s3
	v_mov_b32_e32 v9, v11
	s_clause 0x1
	global_load_b128 v[33:36], v[5:6], off
	global_load_b128 v[29:32], v[7:8], off
	v_lshlrev_b64_e32 v[6:7], 4, v[13:14]
	v_mov_b32_e32 v5, v22
	v_mad_co_u64_u32 v[23:24], null, s5, v57, v[9:10]
	s_delay_alu instid0(VALU_DEP_2) | instskip(SKIP_4) | instid1(VALU_DEP_4)
	v_mad_co_u64_u32 v[8:9], null, s5, v56, v[5:6]
	v_mov_b32_e32 v11, v16
	v_add_co_u32 v6, s3, v27, v6
	s_wait_alu 0xf1ff
	v_add_co_ci_u32_e64 v7, s3, v28, v7, s3
	v_mov_b32_e32 v22, v8
	v_mad_co_u64_u32 v[24:25], null, s5, v58, v[11:12]
	v_mad_co_u64_u32 v[25:26], null, s4, v55, 0
	s_delay_alu instid0(VALU_DEP_2) | instskip(NEXT) | instid1(VALU_DEP_1)
	v_dual_mov_b32 v11, v23 :: v_dual_mov_b32 v16, v24
	v_lshlrev_b64_e32 v[9:10], 4, v[10:11]
	s_delay_alu instid0(VALU_DEP_3) | instskip(NEXT) | instid1(VALU_DEP_1)
	v_mov_b32_e32 v5, v26
	v_mad_co_u64_u32 v[11:12], null, s5, v55, v[5:6]
	s_delay_alu instid0(VALU_DEP_4) | instskip(NEXT) | instid1(VALU_DEP_4)
	v_lshlrev_b64_e32 v[12:13], 4, v[15:16]
	v_add_co_u32 v8, s3, v27, v9
	s_wait_alu 0xf1ff
	v_add_co_ci_u32_e64 v9, s3, v28, v10, s3
	v_lshlrev_b64_e32 v[14:15], 4, v[21:22]
	v_mov_b32_e32 v26, v11
	v_add_co_u32 v10, s3, v27, v12
	s_wait_alu 0xf1ff
	v_add_co_ci_u32_e64 v11, s3, v28, v13, s3
	s_delay_alu instid0(VALU_DEP_3) | instskip(SKIP_3) | instid1(VALU_DEP_3)
	v_lshlrev_b64_e32 v[12:13], 4, v[25:26]
	v_add_co_u32 v54, s3, v27, v14
	s_wait_alu 0xf1ff
	v_add_co_ci_u32_e64 v55, s3, v28, v15, s3
	v_add_co_u32 v56, s3, v27, v12
	s_wait_alu 0xf1ff
	v_add_co_ci_u32_e64 v57, s3, v28, v13, s3
	s_clause 0x4
	global_load_b128 v[25:28], v[6:7], off
	global_load_b128 v[21:24], v[8:9], off
	;; [unrolled: 1-line block ×5, first 2 shown]
.LBB0_10:
	s_wait_alu 0xfffe
	s_or_b32 exec_lo, exec_lo, s14
	s_and_saveexec_b32 s50, s2
	s_cbranch_execz .LBB0_12
; %bb.11:
	s_wait_loadcnt 0xb
	v_add_f64_e32 v[54:55], v[51:52], v[3:4]
	v_add_f64_e32 v[56:57], v[49:50], v[1:2]
	s_wait_loadcnt 0x0
	v_add_f64_e64 v[74:75], v[49:50], -v[5:6]
	v_add_f64_e32 v[76:77], v[49:50], v[5:6]
	s_mov_b32 s18, 0x24c2f84
	s_mov_b32 s2, 0x4bc48dbf
	;; [unrolled: 1-line block ×6, first 2 shown]
	v_add_f64_e32 v[70:71], v[51:52], v[7:8]
	v_add_f64_e64 v[82:83], v[37:38], -v[21:22]
	v_add_f64_e64 v[84:85], v[51:52], -v[7:8]
	;; [unrolled: 1-line block ×3, first 2 shown]
	v_add_f64_e32 v[64:65], v[39:40], v[23:24]
	v_add_f64_e32 v[88:89], v[37:38], v[21:22]
	v_add_f64_e64 v[62:63], v[39:40], -v[23:24]
	v_add_f64_e64 v[92:93], v[41:42], -v[9:10]
	s_mov_b32 s30, 0x66966769
	s_mov_b32 s26, 0x2ef20147
	;; [unrolled: 1-line block ×20, first 2 shown]
	v_add_f64_e32 v[78:79], v[43:44], v[54:55]
	v_add_f64_e32 v[80:81], v[41:42], v[56:57]
	v_add_f64_e32 v[41:42], v[9:10], v[41:42]
	s_wait_alu 0xfffe
	v_mul_f64_e32 v[96:97], s[2:3], v[74:75]
	v_mul_f64_e32 v[100:101], s[18:19], v[74:75]
	;; [unrolled: 1-line block ×3, first 2 shown]
	s_mov_b32 s25, 0xbfef11f4
	s_mov_b32 s49, 0x3fedeba7
	;; [unrolled: 1-line block ×8, first 2 shown]
	v_add_f64_e64 v[68:69], v[17:18], -v[25:26]
	v_add_f64_e32 v[60:61], v[27:28], v[19:20]
	v_add_f64_e32 v[66:67], v[25:26], v[17:18]
	v_add_f64_e64 v[51:52], v[19:20], -v[27:28]
	v_add_f64_e32 v[90:91], v[47:48], v[15:16]
	v_add_f64_e32 v[94:95], v[11:12], v[43:44]
	v_add_f64_e64 v[43:44], v[43:44], -v[11:12]
	v_mul_f64_e32 v[98:99], s[24:25], v[76:77]
	v_mul_f64_e32 v[104:105], s[26:27], v[74:75]
	;; [unrolled: 1-line block ×7, first 2 shown]
	s_wait_alu 0xfffe
	v_mul_f64_e32 v[74:75], s[16:17], v[74:75]
	v_mul_f64_e32 v[76:77], s[28:29], v[76:77]
	;; [unrolled: 1-line block ×7, first 2 shown]
	s_mov_b32 s45, 0x3fcea1e5
	s_mov_b32 s44, s2
	v_mul_f64_e32 v[136:137], s[46:47], v[92:93]
	v_add_f64_e32 v[78:79], v[47:48], v[78:79]
	v_add_f64_e32 v[80:81], v[45:46], v[80:81]
	;; [unrolled: 1-line block ×3, first 2 shown]
	v_mul_f64_e32 v[144:145], s[42:43], v[41:42]
	v_fma_f64 v[178:179], v[70:71], s[24:25], v[96:97]
	v_fma_f64 v[96:97], v[70:71], s[24:25], -v[96:97]
	v_fma_f64 v[182:183], v[70:71], s[34:35], v[100:101]
	v_fma_f64 v[184:185], v[84:85], s[46:47], v[102:103]
	v_fma_f64 v[100:101], v[70:71], s[34:35], -v[100:101]
	v_add_f64_e64 v[47:48], v[47:48], -v[15:16]
	v_mul_f64_e32 v[138:139], s[2:3], v[92:93]
	v_mul_f64_e32 v[140:141], s[26:27], v[92:93]
	;; [unrolled: 1-line block ×6, first 2 shown]
	v_fma_f64 v[102:103], v[84:85], s[18:19], v[102:103]
	v_mul_f64_e32 v[41:42], s[36:37], v[41:42]
	v_add_f64_e64 v[54:55], v[33:34], -v[29:30]
	v_add_f64_e32 v[49:50], v[35:36], v[31:32]
	v_add_f64_e32 v[58:59], v[33:34], v[29:30]
	v_fma_f64 v[180:181], v[84:85], s[44:45], v[98:99]
	v_fma_f64 v[98:99], v[84:85], s[2:3], v[98:99]
	v_add_f64_e64 v[56:57], v[35:36], -v[31:32]
	v_fma_f64 v[186:187], v[70:71], s[42:43], v[108:109]
	v_fma_f64 v[188:189], v[84:85], s[30:31], v[110:111]
	v_fma_f64 v[108:109], v[70:71], s[42:43], -v[108:109]
	v_fma_f64 v[110:111], v[84:85], s[38:39], v[110:111]
	v_fma_f64 v[190:191], v[70:71], s[36:37], v[112:113]
	;; [unrolled: 1-line block ×3, first 2 shown]
	v_fma_f64 v[112:113], v[70:71], s[36:37], -v[112:113]
	v_fma_f64 v[114:115], v[84:85], s[22:23], v[114:115]
	v_fma_f64 v[194:195], v[70:71], s[28:29], v[74:75]
	;; [unrolled: 1-line block ×4, first 2 shown]
	v_fma_f64 v[130:131], v[90:91], s[28:29], -v[130:131]
	v_fma_f64 v[200:201], v[90:91], s[40:41], v[132:133]
	v_fma_f64 v[132:133], v[90:91], s[40:41], -v[132:133]
	v_add_f64_e32 v[39:40], v[39:40], v[78:79]
	v_add_f64_e32 v[37:38], v[37:38], v[80:81]
	v_mul_f64_e32 v[78:79], s[38:39], v[86:87]
	v_mul_f64_e32 v[80:81], s[20:21], v[92:93]
	;; [unrolled: 1-line block ×5, first 2 shown]
	v_fma_f64 v[202:203], v[90:91], s[24:25], v[134:135]
	v_fma_f64 v[134:135], v[90:91], s[24:25], -v[134:135]
	v_fma_f64 v[212:213], v[43:44], s[38:39], v[144:145]
	v_add_f64_e32 v[96:97], v[96:97], v[3:4]
	v_add_f64_e32 v[182:183], v[182:183], v[3:4]
	;; [unrolled: 1-line block ×4, first 2 shown]
	v_mul_f64_e32 v[116:117], s[14:15], v[82:83]
	v_mul_f64_e32 v[118:119], s[44:45], v[82:83]
	;; [unrolled: 1-line block ×7, first 2 shown]
	v_fma_f64 v[208:209], v[94:95], s[34:35], v[136:137]
	v_fma_f64 v[136:137], v[94:95], s[34:35], -v[136:137]
	v_fma_f64 v[210:211], v[94:95], s[24:25], v[138:139]
	v_fma_f64 v[138:139], v[94:95], s[24:25], -v[138:139]
	v_add_f64_e32 v[178:179], v[178:179], v[3:4]
	v_fma_f64 v[144:145], v[43:44], s[30:31], v[144:145]
	v_add_f64_e32 v[180:181], v[180:181], v[1:2]
	v_add_f64_e32 v[98:99], v[98:99], v[1:2]
	;; [unrolled: 1-line block ×13, first 2 shown]
	v_fma_f64 v[37:38], v[70:71], s[40:41], v[104:105]
	v_fma_f64 v[39:40], v[84:85], s[48:49], v[106:107]
	v_fma_f64 v[104:105], v[70:71], s[40:41], -v[104:105]
	v_fma_f64 v[106:107], v[84:85], s[26:27], v[106:107]
	v_fma_f64 v[70:71], v[70:71], s[28:29], -v[74:75]
	v_fma_f64 v[74:75], v[84:85], s[16:17], v[76:77]
	v_fma_f64 v[76:77], v[90:91], s[34:35], v[126:127]
	v_fma_f64 v[84:85], v[90:91], s[34:35], -v[126:127]
	v_fma_f64 v[126:127], v[90:91], s[36:37], v[128:129]
	v_fma_f64 v[128:129], v[90:91], s[36:37], -v[128:129]
	v_fma_f64 v[204:205], v[90:91], s[42:43], v[78:79]
	v_fma_f64 v[78:79], v[90:91], s[42:43], -v[78:79]
	v_fma_f64 v[90:91], v[94:95], s[28:29], v[80:81]
	v_fma_f64 v[80:81], v[94:95], s[28:29], -v[80:81]
	v_fma_f64 v[206:207], v[94:95], s[42:43], v[86:87]
	v_fma_f64 v[86:87], v[94:95], s[42:43], -v[86:87]
	v_add_f64_e32 v[194:195], v[194:195], v[3:4]
	v_add_f64_e32 v[196:197], v[196:197], v[1:2]
	;; [unrolled: 1-line block ×3, first 2 shown]
	v_mul_f64_e32 v[45:46], s[42:43], v[45:46]
	v_mul_f64_e32 v[120:121], s[38:39], v[82:83]
	;; [unrolled: 1-line block ×9, first 2 shown]
	v_add_f64_e32 v[102:103], v[144:145], v[102:103]
	v_add_f64_e32 v[186:187], v[186:187], v[210:211]
	;; [unrolled: 1-line block ×3, first 2 shown]
	v_fma_f64 v[138:139], v[64:65], s[24:25], v[118:119]
	v_fma_f64 v[118:119], v[64:65], s[24:25], -v[118:119]
	v_fma_f64 v[212:213], v[47:48], s[44:45], v[160:161]
	v_mul_f64_e32 v[162:163], s[36:37], v[88:89]
	v_mul_f64_e32 v[88:89], s[40:41], v[88:89]
	v_add_f64_e32 v[19:20], v[35:36], v[19:20]
	v_add_f64_e32 v[17:18], v[33:34], v[17:18]
	v_fma_f64 v[33:34], v[94:95], s[40:41], v[140:141]
	v_fma_f64 v[35:36], v[94:95], s[40:41], -v[140:141]
	v_fma_f64 v[140:141], v[43:44], s[16:17], v[142:143]
	v_fma_f64 v[142:143], v[43:44], s[20:21], v[142:143]
	v_add_f64_e32 v[37:38], v[37:38], v[3:4]
	v_add_f64_e32 v[39:40], v[39:40], v[1:2]
	;; [unrolled: 1-line block ×6, first 2 shown]
	v_fma_f64 v[70:71], v[43:44], s[18:19], v[146:147]
	v_fma_f64 v[74:75], v[94:95], s[36:37], v[92:93]
	v_fma_f64 v[92:93], v[94:95], s[36:37], -v[92:93]
	v_fma_f64 v[94:95], v[43:44], s[46:47], v[146:147]
	v_fma_f64 v[146:147], v[43:44], s[44:45], v[148:149]
	;; [unrolled: 1-line block ×3, first 2 shown]
	v_add_f64_e32 v[80:81], v[96:97], v[80:81]
	v_fma_f64 v[96:97], v[47:48], s[14:15], v[154:155]
	v_add_f64_e32 v[182:183], v[182:183], v[206:207]
	v_add_f64_e32 v[86:87], v[100:101], v[86:87]
	;; [unrolled: 1-line block ×3, first 2 shown]
	v_fma_f64 v[154:155], v[47:48], s[22:23], v[154:155]
	v_fma_f64 v[206:207], v[47:48], s[26:27], v[158:159]
	;; [unrolled: 1-line block ×6, first 2 shown]
	v_mul_f64_e32 v[172:173], s[26:27], v[68:69]
	v_mul_f64_e32 v[144:145], s[24:25], v[66:67]
	;; [unrolled: 1-line block ×3, first 2 shown]
	v_add_f64_e32 v[108:109], v[132:133], v[108:109]
	v_mul_f64_e32 v[178:179], s[30:31], v[54:55]
	v_mul_f64_e32 v[210:211], s[42:43], v[58:59]
	v_fma_f64 v[132:133], v[62:63], s[48:49], v[88:89]
	v_add_f64_e32 v[19:20], v[31:32], v[19:20]
	v_add_f64_e32 v[17:18], v[29:30], v[17:18]
	v_fma_f64 v[31:32], v[43:44], s[26:27], v[150:151]
	v_fma_f64 v[29:30], v[43:44], s[48:49], v[150:151]
	;; [unrolled: 1-line block ×4, first 2 shown]
	v_mul_f64_e32 v[43:44], s[28:29], v[66:67]
	v_add_f64_e32 v[140:141], v[140:141], v[180:181]
	v_fma_f64 v[180:181], v[47:48], s[46:47], v[152:153]
	v_add_f64_e32 v[98:99], v[142:143], v[98:99]
	v_fma_f64 v[142:143], v[47:48], s[16:17], v[156:157]
	v_fma_f64 v[156:157], v[47:48], s[20:21], v[156:157]
	v_add_f64_e32 v[37:38], v[37:38], v[208:209]
	v_add_f64_e32 v[39:40], v[70:71], v[39:40]
	;; [unrolled: 1-line block ×5, first 2 shown]
	v_fma_f64 v[188:189], v[64:65], s[36:37], v[116:117]
	v_fma_f64 v[116:117], v[64:65], s[36:37], -v[116:117]
	v_add_f64_e32 v[80:81], v[84:85], v[80:81]
	v_add_f64_e32 v[126:127], v[126:127], v[182:183]
	v_fma_f64 v[182:183], v[62:63], s[2:3], v[164:165]
	v_add_f64_e32 v[96:97], v[96:97], v[184:185]
	v_add_f64_e32 v[86:87], v[128:129], v[86:87]
	;; [unrolled: 1-line block ×4, first 2 shown]
	v_fma_f64 v[152:153], v[47:48], s[18:19], v[152:153]
	v_add_f64_e32 v[3:4], v[3:4], v[92:93]
	v_mul_f64_e32 v[47:48], s[44:45], v[68:69]
	v_mul_f64_e32 v[208:209], s[22:23], v[68:69]
	v_mul_f64_e32 v[70:71], s[36:37], v[66:67]
	v_mul_f64_e32 v[136:137], s[30:31], v[68:69]
	v_mul_f64_e32 v[106:107], s[42:43], v[66:67]
	v_mul_f64_e32 v[68:69], s[18:19], v[68:69]
	v_add_f64_e32 v[76:77], v[76:77], v[90:91]
	v_fma_f64 v[90:91], v[64:65], s[42:43], v[120:121]
	v_fma_f64 v[120:121], v[64:65], s[42:43], -v[120:121]
	v_fma_f64 v[84:85], v[64:65], s[34:35], v[124:125]
	v_add_f64_e32 v[19:20], v[27:28], v[19:20]
	v_add_f64_e32 v[17:18], v[25:26], v[17:18]
	;; [unrolled: 1-line block ×9, first 2 shown]
	v_fma_f64 v[180:181], v[64:65], s[28:29], v[122:123]
	v_fma_f64 v[122:123], v[64:65], s[28:29], -v[122:123]
	v_fma_f64 v[33:34], v[62:63], s[44:45], v[164:165]
	v_fma_f64 v[110:111], v[62:63], s[30:31], v[166:167]
	;; [unrolled: 1-line block ×6, first 2 shown]
	v_fma_f64 v[114:115], v[60:61], s[28:29], -v[176:177]
	v_add_f64_e32 v[41:42], v[154:155], v[102:103]
	v_add_f64_e32 v[37:38], v[198:199], v[37:38]
	;; [unrolled: 1-line block ×11, first 2 shown]
	v_fma_f64 v[118:119], v[64:65], s[34:35], -v[124:125]
	v_fma_f64 v[124:125], v[64:65], s[40:41], v[82:83]
	v_fma_f64 v[126:127], v[62:63], s[46:47], v[170:171]
	v_add_f64_e32 v[35:36], v[134:135], v[35:36]
	v_add_f64_e32 v[74:75], v[204:205], v[74:75]
	v_fma_f64 v[184:185], v[60:61], s[28:29], v[176:177]
	v_fma_f64 v[64:65], v[64:65], s[40:41], -v[82:83]
	v_fma_f64 v[82:83], v[62:63], s[18:19], v[170:171]
	v_add_f64_e32 v[98:99], v[152:153], v[98:99]
	v_add_f64_e32 v[19:20], v[23:24], v[19:20]
	;; [unrolled: 1-line block ×7, first 2 shown]
	v_fma_f64 v[152:153], v[62:63], s[22:23], v[162:163]
	v_fma_f64 v[162:163], v[62:63], s[14:15], v[162:163]
	v_mul_f64_e32 v[66:67], s[34:35], v[66:67]
	v_fma_f64 v[62:63], v[62:63], s[26:27], v[88:89]
	v_add_f64_e32 v[3:4], v[78:79], v[3:4]
	v_add_f64_e32 v[1:2], v[45:46], v[1:2]
	;; [unrolled: 1-line block ×3, first 2 shown]
	v_fma_f64 v[166:167], v[60:61], s[40:41], v[172:173]
	v_fma_f64 v[172:173], v[60:61], s[40:41], -v[172:173]
	v_mul_f64_e32 v[27:28], s[40:41], v[58:59]
	v_fma_f64 v[43:44], v[51:52], s[20:21], v[43:44]
	v_mul_f64_e32 v[25:26], s[26:27], v[54:55]
	v_add_f64_e32 v[33:34], v[33:34], v[41:42]
	v_add_f64_e32 v[37:38], v[90:91], v[37:38]
	;; [unrolled: 1-line block ×8, first 2 shown]
	v_fma_f64 v[104:105], v[60:61], s[36:37], v[208:209]
	v_add_f64_e32 v[96:97], v[112:113], v[96:97]
	v_add_f64_e32 v[86:87], v[114:115], v[86:87]
	v_fma_f64 v[108:109], v[51:52], s[14:15], v[70:71]
	v_fma_f64 v[110:111], v[60:61], s[36:37], -v[208:209]
	v_fma_f64 v[112:113], v[60:61], s[42:43], v[136:137]
	v_add_f64_e32 v[35:36], v[118:119], v[35:36]
	v_fma_f64 v[114:115], v[51:52], s[38:39], v[106:107]
	v_fma_f64 v[118:119], v[60:61], s[42:43], -v[136:137]
	v_add_f64_e32 v[74:75], v[124:125], v[74:75]
	v_mul_f64_e32 v[120:121], s[20:21], v[54:55]
	v_fma_f64 v[106:107], v[51:52], s[30:31], v[106:107]
	v_add_f64_e32 v[15:16], v[15:16], v[19:20]
	v_add_f64_e32 v[13:14], v[13:14], v[17:18]
	;; [unrolled: 1-line block ×4, first 2 shown]
	v_fma_f64 v[21:22], v[60:61], s[24:25], v[47:48]
	v_fma_f64 v[23:24], v[51:52], s[2:3], v[144:145]
	v_fma_f64 v[47:48], v[60:61], s[24:25], -v[47:48]
	v_fma_f64 v[84:85], v[51:52], s[44:45], v[144:145]
	v_add_f64_e32 v[31:32], v[126:127], v[31:32]
	v_fma_f64 v[124:125], v[60:61], s[34:35], v[68:69]
	v_fma_f64 v[60:61], v[60:61], s[34:35], -v[68:69]
	v_mul_f64_e32 v[68:69], s[28:29], v[58:59]
	v_add_f64_e32 v[102:103], v[184:185], v[116:117]
	v_fma_f64 v[70:71], v[51:52], s[22:23], v[70:71]
	v_add_f64_e32 v[29:30], v[82:83], v[29:30]
	v_mul_f64_e32 v[82:83], s[14:15], v[54:55]
	v_mul_f64_e32 v[116:117], s[18:19], v[54:55]
	;; [unrolled: 1-line block ×4, first 2 shown]
	v_fma_f64 v[168:169], v[51:52], s[48:49], v[174:175]
	v_fma_f64 v[174:175], v[51:52], s[26:27], v[174:175]
	v_add_f64_e32 v[130:131], v[152:153], v[140:141]
	v_add_f64_e32 v[98:99], v[162:163], v[98:99]
	;; [unrolled: 1-line block ×4, first 2 shown]
	v_mul_f64_e32 v[54:55], s[2:3], v[54:55]
	v_add_f64_e32 v[1:2], v[62:63], v[1:2]
	v_fma_f64 v[62:63], v[51:52], s[18:19], v[66:67]
	v_mul_f64_e32 v[58:59], s[24:25], v[58:59]
	v_add_f64_e32 v[100:101], v[132:133], v[100:101]
	v_fma_f64 v[51:52], v[51:52], s[46:47], v[66:67]
	v_fma_f64 v[66:67], v[56:57], s[48:49], v[27:28]
	v_add_f64_e32 v[33:34], v[43:44], v[33:34]
	v_fma_f64 v[27:28], v[56:57], s[26:27], v[27:28]
	v_add_f64_e32 v[43:44], v[104:105], v[78:79]
	v_add_f64_e32 v[35:36], v[118:119], v[35:36]
	v_fma_f64 v[132:133], v[49:50], s[40:41], v[25:26]
	v_fma_f64 v[25:26], v[49:50], s[40:41], -v[25:26]
	v_add_f64_e32 v[80:81], v[172:173], v[80:81]
	v_fma_f64 v[128:129], v[49:50], s[42:43], -v[178:179]
	v_fma_f64 v[88:89], v[49:50], s[42:43], v[178:179]
	v_add_f64_e32 v[78:79], v[112:113], v[19:20]
	v_add_f64_e32 v[21:22], v[21:22], v[37:38]
	;; [unrolled: 1-line block ×8, first 2 shown]
	v_fma_f64 v[108:109], v[49:50], s[28:29], -v[120:121]
	v_fma_f64 v[110:111], v[56:57], s[20:21], v[68:69]
	v_add_f64_e32 v[70:71], v[70:71], v[17:18]
	v_add_f64_e32 v[84:85], v[114:115], v[29:30]
	v_fma_f64 v[29:30], v[49:50], s[36:37], -v[82:83]
	v_fma_f64 v[90:91], v[49:50], s[34:35], -v[116:117]
	v_fma_f64 v[112:113], v[56:57], s[18:19], v[126:127]
	v_fma_f64 v[114:115], v[56:57], s[14:15], v[122:123]
	;; [unrolled: 1-line block ×4, first 2 shown]
	v_add_f64_e32 v[94:95], v[168:169], v[130:131]
	v_add_f64_e32 v[98:99], v[174:175], v[98:99]
	v_fma_f64 v[130:131], v[56:57], s[30:31], v[210:211]
	v_add_f64_e32 v[76:77], v[166:167], v[76:77]
	v_fma_f64 v[92:93], v[56:57], s[22:23], v[122:123]
	v_fma_f64 v[82:83], v[49:50], s[34:35], v[116:117]
	;; [unrolled: 1-line block ×4, first 2 shown]
	v_fma_f64 v[118:119], v[49:50], s[24:25], -v[54:55]
	v_add_f64_e32 v[60:61], v[60:61], v[3:4]
	v_add_f64_e32 v[62:63], v[62:63], v[1:2]
	v_fma_f64 v[120:121], v[56:57], s[2:3], v[58:59]
	v_add_f64_e32 v[134:135], v[11:12], v[15:16]
	v_add_f64_e32 v[136:137], v[9:10], v[13:14]
	v_fma_f64 v[49:50], v[49:50], s[24:25], v[54:55]
	v_fma_f64 v[54:55], v[56:57], s[16:17], v[68:69]
	v_add_f64_e32 v[74:75], v[124:125], v[74:75]
	v_fma_f64 v[56:57], v[56:57], s[44:45], v[58:59]
	v_add_f64_e32 v[58:59], v[51:52], v[100:101]
	v_add_f64_e32 v[17:18], v[27:28], v[33:34]
	;; [unrolled: 1-line block ×26, first 2 shown]
	v_mul_u32_u24_e32 v54, 0x750, v73
	v_add_f64_e32 v[49:50], v[56:57], v[58:59]
	v_lshlrev_b32_e32 v55, 4, v72
	s_delay_alu instid0(VALU_DEP_1)
	v_add3_u32 v54, 0, v54, v55
	ds_store_b128 v54, v[33:36] offset:288
	ds_store_b128 v54, v[29:32] offset:432
	;; [unrolled: 1-line block ×9, first 2 shown]
	ds_store_b128 v54, v[5:8]
	ds_store_b128 v54, v[37:40] offset:1440
	ds_store_b128 v54, v[41:44] offset:1584
	;; [unrolled: 1-line block ×3, first 2 shown]
.LBB0_12:
	s_or_b32 exec_lo, exec_lo, s50
	s_wait_loadcnt 0xc
	v_mul_lo_u16 v1, v73, 20
	global_wb scope:SCOPE_SE
	s_wait_loadcnt_dscnt 0x0
	s_wait_kmcnt 0x0
	s_barrier_signal -1
	s_barrier_wait -1
	global_inv scope:SCOPE_SE
	v_lshrrev_b16 v52, 8, v1
	v_lshlrev_b32_e32 v77, 4, v72
	s_mov_b32 s2, 0x667f3bcd
	s_mov_b32 s3, 0xbfe6a09e
	s_mov_b32 s15, 0x3fe6a09e
	v_mul_lo_u16 v1, v52, 13
	s_wait_alu 0xfffe
	s_mov_b32 s14, s2
	s_delay_alu instid0(VALU_DEP_1) | instskip(NEXT) | instid1(VALU_DEP_1)
	v_sub_nc_u16 v1, v73, v1
	v_and_b32_e32 v76, 0xff, v1
	s_delay_alu instid0(VALU_DEP_1) | instskip(NEXT) | instid1(VALU_DEP_1)
	v_mul_u32_u24_e32 v1, 7, v76
	v_lshlrev_b32_e32 v1, 4, v1
	s_clause 0x6
	global_load_b128 v[4:7], v1, s[12:13]
	global_load_b128 v[8:11], v1, s[12:13] offset:16
	global_load_b128 v[12:15], v1, s[12:13] offset:48
	;; [unrolled: 1-line block ×6, first 2 shown]
	v_mul_u32_u24_e32 v1, 0x90, v73
	s_delay_alu instid0(VALU_DEP_1)
	v_add3_u32 v3, 0, v1, v77
	ds_load_b128 v[32:35], v3 offset:3744
	ds_load_b128 v[36:39], v3 offset:7488
	;; [unrolled: 1-line block ×7, first 2 shown]
	s_wait_loadcnt_dscnt 0x606
	v_mul_f64_e32 v[1:2], v[34:35], v[6:7]
	v_mul_f64_e32 v[6:7], v[32:33], v[6:7]
	s_wait_loadcnt_dscnt 0x505
	v_mul_f64_e32 v[62:63], v[38:39], v[10:11]
	v_mul_f64_e32 v[10:11], v[36:37], v[10:11]
	;; [unrolled: 3-line block ×7, first 2 shown]
	v_fma_f64 v[1:2], v[32:33], v[4:5], v[1:2]
	v_fma_f64 v[32:33], v[34:35], v[4:5], -v[6:7]
	v_fma_f64 v[34:35], v[36:37], v[8:9], v[62:63]
	v_fma_f64 v[8:9], v[38:39], v[8:9], -v[10:11]
	;; [unrolled: 2-line block ×7, first 2 shown]
	ds_load_b128 v[4:7], v3
	global_wb scope:SCOPE_SE
	s_wait_dscnt 0x0
	s_barrier_signal -1
	s_barrier_wait -1
	global_inv scope:SCOPE_SE
	v_add_f64_e64 v[10:11], v[4:5], -v[10:11]
	v_add_f64_e64 v[12:13], v[6:7], -v[12:13]
	;; [unrolled: 1-line block ×8, first 2 shown]
	v_fma_f64 v[4:5], v[4:5], 2.0, -v[10:11]
	v_fma_f64 v[6:7], v[6:7], 2.0, -v[12:13]
	;; [unrolled: 1-line block ×6, first 2 shown]
	v_add_f64_e32 v[34:35], v[10:11], v[16:17]
	v_add_f64_e64 v[36:37], v[12:13], -v[14:15]
	v_fma_f64 v[14:15], v[22:23], 2.0, -v[26:27]
	v_fma_f64 v[16:17], v[24:25], 2.0, -v[28:29]
	v_add_f64_e32 v[22:23], v[18:19], v[28:29]
	v_add_f64_e64 v[24:25], v[20:21], -v[26:27]
	v_add_f64_e64 v[26:27], v[4:5], -v[30:31]
	;; [unrolled: 1-line block ×3, first 2 shown]
	v_fma_f64 v[38:39], v[10:11], 2.0, -v[34:35]
	v_fma_f64 v[40:41], v[12:13], 2.0, -v[36:37]
	v_add_f64_e64 v[8:9], v[1:2], -v[14:15]
	v_add_f64_e64 v[10:11], v[32:33], -v[16:17]
	v_fma_f64 v[18:19], v[18:19], 2.0, -v[22:23]
	v_fma_f64 v[16:17], v[20:21], 2.0, -v[24:25]
	s_wait_alu 0xfffe
	v_fma_f64 v[12:13], v[22:23], s[14:15], v[34:35]
	v_fma_f64 v[14:15], v[24:25], s[14:15], v[36:37]
	v_fma_f64 v[30:31], v[4:5], 2.0, -v[26:27]
	v_fma_f64 v[42:43], v[6:7], 2.0, -v[28:29]
	;; [unrolled: 1-line block ×4, first 2 shown]
	v_fma_f64 v[32:33], v[18:19], s[2:3], v[38:39]
	v_fma_f64 v[44:45], v[16:17], s[2:3], v[40:41]
	v_add_f64_e32 v[4:5], v[26:27], v[10:11]
	v_add_f64_e64 v[6:7], v[28:29], -v[8:9]
	v_fma_f64 v[8:9], v[24:25], s[14:15], v[12:13]
	v_fma_f64 v[10:11], v[22:23], s[2:3], v[14:15]
	v_add_f64_e64 v[12:13], v[30:31], -v[1:2]
	v_add_f64_e64 v[14:15], v[42:43], -v[20:21]
	v_fma_f64 v[16:17], v[16:17], s[14:15], v[32:33]
	v_fma_f64 v[18:19], v[18:19], s[2:3], v[44:45]
	v_fma_f64 v[20:21], v[26:27], 2.0, -v[4:5]
	v_fma_f64 v[22:23], v[28:29], 2.0, -v[6:7]
	;; [unrolled: 1-line block ×4, first 2 shown]
	v_and_b32_e32 v1, 0xffff, v52
	s_or_b32 s2, s33, vcc_lo
	s_delay_alu instid0(VALU_DEP_1) | instskip(NEXT) | instid1(VALU_DEP_1)
	v_mad_u32_u24 v1, 0x68, v1, v76
	v_mul_u32_u24_e32 v1, 0x90, v1
	s_delay_alu instid0(VALU_DEP_1)
	v_add3_u32 v1, 0, v1, v77
	v_fma_f64 v[28:29], v[30:31], 2.0, -v[12:13]
	v_fma_f64 v[30:31], v[42:43], 2.0, -v[14:15]
	;; [unrolled: 1-line block ×4, first 2 shown]
	ds_store_b128 v1, v[4:7] offset:11232
	ds_store_b128 v1, v[8:11] offset:13104
	;; [unrolled: 1-line block ×6, first 2 shown]
	ds_store_b128 v1, v[28:31]
	ds_store_b128 v1, v[32:35] offset:1872
	global_wb scope:SCOPE_SE
	s_wait_dscnt 0x0
	s_barrier_signal -1
	s_barrier_wait -1
	global_inv scope:SCOPE_SE
	s_wait_alu 0xfffe
	s_and_saveexec_b32 s3, s2
	s_cbranch_execz .LBB0_14
; %bb.13:
	v_subrev_nc_u32_e32 v1, 26, v73
	v_cmp_gt_u32_e32 vcc_lo, 0xea, v0
	v_add_nc_u32_e32 v6, 52, v73
	v_subrev_nc_u32_e32 v9, 52, v73
	v_add_nc_u32_e32 v4, 0x4e, v73
	v_mov_b32_e32 v2, 0
	v_add_nc_u32_e32 v10, 0xffffffb2, v73
	s_load_b64 s[0:1], s[0:1], 0x8
	v_add_nc_u32_e32 v113, 0x2be0, v3
	v_cndmask_b32_e32 v1, v1, v4, vcc_lo
	v_cmp_gt_u32_e32 vcc_lo, 0x1d4, v0
	v_dual_mov_b32 v122, v2 :: v_dual_add_nc_u32 v11, 0xffffff98, v73
	v_dual_mov_b32 v124, v2 :: v_dual_add_nc_u32 v5, 26, v73
	s_delay_alu instid0(VALU_DEP_4)
	v_lshlrev_b64_e32 v[7:8], 4, v[1:2]
	s_wait_alu 0xfffd
	v_cndmask_b32_e32 v121, v9, v6, vcc_lo
	v_mul_lo_u32 v47, v53, v1
	v_mov_b32_e32 v126, v2
	v_add_nc_u32_e32 v2, 0x68, v1
	v_add_co_u32 v7, vcc_lo, s12, v7
	s_wait_alu 0xfffd
	v_add_co_ci_u32_e32 v8, vcc_lo, s13, v8, vcc_lo
	v_cmp_gt_u32_e32 vcc_lo, 0x3a8, v0
	v_mul_lo_u32 v24, v53, v121
	v_lshlrev_b64_e32 v[13:14], 4, v[121:122]
	v_add_nc_u32_e32 v23, 0x68, v121
	v_mul_lo_u32 v2, v53, v2
	s_wait_alu 0xfffd
	v_cndmask_b32_e32 v123, v11, v73, vcc_lo
	v_cmp_gt_u32_e32 vcc_lo, 0x2be, v0
	v_and_b32_e32 v55, 0xff, v47
	v_mul_lo_u32 v23, v53, v23
	v_and_b32_e32 v56, 0xff, v24
	v_lshlrev_b64_e32 v[11:12], 4, v[123:124]
	s_wait_alu 0xfffd
	v_cndmask_b32_e32 v125, v10, v5, vcc_lo
	global_load_b128 v[7:10], v[7:8], off offset:1456
	v_add_nc_u32_e32 v27, 0x68, v123
	v_mul_lo_u32 v28, v53, v123
	v_lshrrev_b32_e32 v57, 4, v24
	v_lshlrev_b64_e32 v[15:16], 4, v[125:126]
	v_add_co_u32 v11, vcc_lo, s12, v11
	s_wait_alu 0xfffd
	v_add_co_ci_u32_e32 v12, vcc_lo, s13, v12, vcc_lo
	v_add_nc_u32_e32 v25, 0x68, v125
	s_delay_alu instid0(VALU_DEP_4)
	v_add_co_u32 v15, vcc_lo, s12, v15
	s_wait_alu 0xfffd
	v_add_co_ci_u32_e32 v16, vcc_lo, s13, v16, vcc_lo
	v_add_co_u32 v19, vcc_lo, s12, v13
	s_wait_alu 0xfffd
	v_add_co_ci_u32_e32 v20, vcc_lo, s13, v14, vcc_lo
	s_clause 0x2
	global_load_b128 v[11:14], v[11:12], off offset:1456
	global_load_b128 v[15:18], v[15:16], off offset:1456
	;; [unrolled: 1-line block ×3, first 2 shown]
	v_mul_lo_u32 v26, v53, v125
	v_mul_lo_u32 v25, v53, v25
	;; [unrolled: 1-line block ×3, first 2 shown]
	v_and_b32_e32 v29, 0xff, v28
	v_lshrrev_b32_e32 v28, 4, v28
	v_and_b32_e32 v30, 0xff, v2
	v_lshrrev_b32_e32 v2, 4, v2
	v_and_b32_e32 v31, 0xff, v23
	v_and_b32_e32 v24, 0xff, v26
	v_lshrrev_b32_e32 v26, 4, v26
	v_lshrrev_b32_e32 v23, 4, v23
	v_and_b32_e32 v32, 0xff, v25
	v_lshrrev_b32_e32 v25, 4, v25
	v_lshlrev_b32_e32 v24, 4, v24
	v_and_b32_e32 v34, 0xff, v27
	v_lshrrev_b32_e32 v35, 4, v27
	v_lshlrev_b32_e32 v36, 4, v29
	v_and_b32_e32 v33, 0xff0, v26
	v_and_b32_e32 v37, 0xff0, v28
	v_lshlrev_b32_e32 v39, 4, v30
	v_and_b32_e32 v2, 0xff0, v2
	v_lshlrev_b32_e32 v48, 4, v31
	;; [unrolled: 2-line block ×3, first 2 shown]
	v_and_b32_e32 v59, 0xff0, v25
	s_wait_kmcnt 0x0
	s_clause 0x1
	global_load_b128 v[23:26], v24, s[0:1]
	global_load_b128 v[27:30], v33, s[0:1] offset:4096
	v_lshlrev_b32_e32 v71, 4, v34
	v_and_b32_e32 v85, 0xff0, v35
	s_clause 0x3
	global_load_b128 v[31:34], v36, s[0:1]
	global_load_b128 v[35:38], v37, s[0:1] offset:4096
	global_load_b128 v[39:42], v39, s[0:1]
	global_load_b128 v[43:46], v2, s[0:1] offset:4096
	v_lshrrev_b32_e32 v2, 4, v47
	v_lshlrev_b32_e32 v63, 4, v56
	v_and_b32_e32 v67, 0xff0, v57
	s_clause 0x1
	global_load_b128 v[47:50], v48, s[0:1]
	global_load_b128 v[51:54], v51, s[0:1] offset:4096
	v_lshlrev_b32_e32 v73, 4, v55
	v_and_b32_e32 v2, 0xff0, v2
	s_clause 0x7
	global_load_b128 v[55:58], v58, s[0:1]
	global_load_b128 v[59:62], v59, s[0:1] offset:4096
	global_load_b128 v[63:66], v63, s[0:1]
	global_load_b128 v[67:70], v67, s[0:1] offset:4096
	;; [unrolled: 2-line block ×4, first 2 shown]
	ds_load_b128 v[89:92], v3 offset:26208
	ds_load_b128 v[93:96], v3 offset:14976
	;; [unrolled: 1-line block ×4, first 2 shown]
	v_add_nc_u32_e32 v2, 0xea0, v3
	ds_load_b128 v[105:108], v3
	ds_load_b128 v[109:112], v2
	v_add_nc_u32_e32 v71, 0x1d40, v3
	v_mad_co_u64_u32 v[2:3], null, s6, v72, 0
	ds_load_b128 v[113:116], v113
	ds_load_b128 v[117:120], v71
	v_cmp_lt_u32_e32 vcc_lo, 0x3a7, v0
	s_lshl_b64 s[0:1], s[10:11], 4
	s_delay_alu instid0(SALU_CYCLE_1) | instskip(SKIP_4) | instid1(VALU_DEP_2)
	s_add_nc_u64 s[0:1], s[8:9], s[0:1]
	v_mov_b32_e32 v0, v3
	v_sub_nc_u32_e32 v3, v5, v125
	s_wait_alu 0xfffd
	v_cndmask_b32_e64 v122, 0, 0xd0, vcc_lo
	v_add_nc_u32_e32 v137, v3, v5
	s_delay_alu instid0(VALU_DEP_2) | instskip(NEXT) | instid1(VALU_DEP_2)
	v_add_nc_u32_e32 v135, v123, v122
	v_add_nc_u32_e32 v140, 0x68, v137
	s_delay_alu instid0(VALU_DEP_2)
	v_add_nc_u32_e32 v136, 0x68, v135
	s_wait_loadcnt_dscnt 0x1307
	v_mul_f64_e32 v[126:127], v[89:90], v[9:10]
	v_mul_f64_e32 v[9:10], v[91:92], v[9:10]
	s_wait_loadcnt_dscnt 0x1206
	v_mul_f64_e32 v[128:129], v[95:96], v[13:14]
	v_mul_f64_e32 v[13:14], v[93:94], v[13:14]
	s_wait_loadcnt_dscnt 0x1105
	v_mul_f64_e32 v[130:131], v[99:100], v[17:18]
	v_mul_f64_e32 v[17:18], v[97:98], v[17:18]
	s_wait_loadcnt_dscnt 0x1004
	v_mul_f64_e32 v[132:133], v[103:104], v[21:22]
	v_mul_f64_e32 v[21:22], v[101:102], v[21:22]
	v_fma_f64 v[91:92], v[91:92], v[7:8], -v[126:127]
	v_fma_f64 v[7:8], v[89:90], v[7:8], v[9:10]
	v_sub_nc_u32_e32 v89, v4, v1
	v_mad_co_u64_u32 v[0:1], null, s7, v72, v[0:1]
	s_delay_alu instid0(VALU_DEP_2) | instskip(SKIP_1) | instid1(VALU_DEP_3)
	v_add_nc_u32_e32 v139, v89, v4
	v_mad_co_u64_u32 v[4:5], null, s4, v136, 0
	v_mov_b32_e32 v3, v0
	v_sub_nc_u32_e32 v71, v6, v121
	s_wait_loadcnt 0xe
	v_mul_f64_e32 v[0:1], v[23:24], v[29:30]
	s_wait_loadcnt 0x6
	v_mul_f64_e32 v[121:122], v[55:56], v[61:62]
	v_mul_f64_e32 v[29:30], v[25:26], v[29:30]
	;; [unrolled: 1-line block ×3, first 2 shown]
	v_fma_f64 v[9:10], v[93:94], v[11:12], v[128:129]
	v_fma_f64 v[11:12], v[95:96], v[11:12], -v[13:14]
	v_fma_f64 v[13:14], v[97:98], v[15:16], v[130:131]
	v_fma_f64 v[15:16], v[99:100], v[15:16], -v[17:18]
	;; [unrolled: 2-line block ×3, first 2 shown]
	v_mul_f64_e32 v[95:96], v[31:32], v[37:38]
	v_mul_f64_e32 v[97:98], v[39:40], v[45:46]
	s_wait_loadcnt 0x4
	v_mul_f64_e32 v[99:100], v[63:64], v[69:70]
	v_mul_f64_e32 v[101:102], v[47:48], v[53:54]
	s_wait_loadcnt 0x2
	v_mul_f64_e32 v[103:104], v[73:74], v[79:80]
	s_wait_loadcnt 0x0
	v_mul_f64_e32 v[123:124], v[81:82], v[87:88]
	v_add_nc_u32_e32 v138, v71, v6
	v_mul_f64_e32 v[37:38], v[33:34], v[37:38]
	v_mul_f64_e32 v[45:46], v[41:42], v[45:46]
	v_mul_f64_e32 v[53:54], v[49:50], v[53:54]
	v_mul_f64_e32 v[79:80], v[75:76], v[79:80]
	v_mul_f64_e32 v[69:70], v[65:66], v[69:70]
	v_mul_f64_e32 v[87:88], v[83:84], v[87:88]
	v_mad_co_u64_u32 v[21:22], null, s4, v135, 0
	s_wait_dscnt 0x1
	v_add_f64_e64 v[91:92], v[115:116], -v[91:92]
	v_add_f64_e64 v[125:126], v[113:114], -v[7:8]
	v_mad_co_u64_u32 v[71:72], null, s4, v137, 0
	v_mad_co_u64_u32 v[89:90], null, s4, v138, 0
	;; [unrolled: 1-line block ×3, first 2 shown]
	v_add_nc_u32_e32 v141, 0x68, v138
	v_lshlrev_b64_e32 v[2:3], 4, v[2:3]
	v_add_nc_u32_e32 v142, 0x68, v139
	v_fma_f64 v[0:1], v[25:26], v[27:28], v[0:1]
	v_fma_f64 v[57:58], v[57:58], v[59:60], v[121:122]
	v_fma_f64 v[27:28], v[23:24], v[27:28], -v[29:30]
	v_fma_f64 v[29:30], v[55:56], v[59:60], -v[61:62]
	v_add_f64_e64 v[127:128], v[105:106], -v[9:10]
	v_add_f64_e64 v[129:130], v[107:108], -v[11:12]
	;; [unrolled: 1-line block ×4, first 2 shown]
	s_wait_dscnt 0x0
	v_add_f64_e64 v[12:13], v[117:118], -v[17:18]
	v_add_f64_e64 v[6:7], v[119:120], -v[19:20]
	v_fma_f64 v[25:26], v[33:34], v[35:36], v[95:96]
	v_fma_f64 v[33:34], v[41:42], v[43:44], v[97:98]
	;; [unrolled: 1-line block ×6, first 2 shown]
	v_mad_co_u64_u32 v[15:16], null, s4, v140, 0
	v_dual_mov_b32 v14, v22 :: v_dual_mov_b32 v19, v94
	v_fma_f64 v[23:24], v[31:32], v[35:36], -v[37:38]
	v_fma_f64 v[35:36], v[39:40], v[43:44], -v[45:46]
	;; [unrolled: 1-line block ×4, first 2 shown]
	v_mad_co_u64_u32 v[17:18], null, s5, v135, v[14:15]
	v_fma_f64 v[83:84], v[115:116], 2.0, -v[91:92]
	v_fma_f64 v[95:96], v[113:114], 2.0, -v[125:126]
	v_mov_b32_e32 v14, v72
	v_mov_b32_e32 v18, v90
	v_fma_f64 v[73:74], v[73:74], v[77:78], -v[79:80]
	v_mad_co_u64_u32 v[131:132], null, s4, v141, 0
	v_mad_co_u64_u32 v[133:134], null, s4, v142, 0
	v_mov_b32_e32 v22, v17
	v_fma_f64 v[97:98], v[105:106], 2.0, -v[127:128]
	v_fma_f64 v[99:100], v[107:108], 2.0, -v[129:130]
	;; [unrolled: 1-line block ×6, first 2 shown]
	v_mad_co_u64_u32 v[109:110], null, s5, v137, v[14:15]
	v_mad_co_u64_u32 v[110:111], null, s5, v138, v[18:19]
	;; [unrolled: 1-line block ×3, first 2 shown]
	v_fma_f64 v[19:20], v[47:48], v[51:52], -v[53:54]
	v_mul_f64_e32 v[39:40], v[12:13], v[49:50]
	v_mul_f64_e32 v[43:44], v[6:7], v[49:50]
	;; [unrolled: 1-line block ×8, first 2 shown]
	v_add_co_u32 v112, vcc_lo, s0, v2
	v_mul_f64_e32 v[59:60], v[95:96], v[65:66]
	v_mul_f64_e32 v[61:62], v[83:84], v[65:66]
	s_wait_alu 0xfffd
	v_add_co_ci_u32_e32 v113, vcc_lo, s1, v3, vcc_lo
	v_mad_co_u64_u32 v[2:3], null, s5, v136, v[5:6]
	v_mov_b32_e32 v3, v16
	v_dual_mov_b32 v5, v132 :: v_dual_mov_b32 v14, v134
	v_mov_b32_e32 v94, v18
	v_mov_b32_e32 v72, v109
	s_delay_alu instid0(VALU_DEP_4) | instskip(NEXT) | instid1(VALU_DEP_4)
	v_mad_co_u64_u32 v[16:17], null, s5, v140, v[3:4]
	v_mad_co_u64_u32 v[65:66], null, s5, v141, v[5:6]
	v_mul_f64_e32 v[53:54], v[97:98], v[25:26]
	v_mul_f64_e32 v[25:26], v[99:100], v[25:26]
	;; [unrolled: 1-line block ×6, first 2 shown]
	v_mov_b32_e32 v5, v2
	v_mad_co_u64_u32 v[66:67], null, s5, v142, v[14:15]
	v_lshlrev_b64_e32 v[2:3], 4, v[21:22]
	v_lshlrev_b64_e32 v[77:78], 4, v[15:16]
	s_delay_alu instid0(VALU_DEP_4)
	v_lshlrev_b64_e32 v[67:68], 4, v[4:5]
	v_mov_b32_e32 v132, v65
	v_fma_f64 v[6:7], v[6:7], v[19:20], -v[39:40]
	v_fma_f64 v[4:5], v[12:13], v[19:20], v[43:44]
	v_mov_b32_e32 v134, v66
	v_fma_f64 v[14:15], v[129:130], v[31:32], -v[49:50]
	v_fma_f64 v[12:13], v[127:128], v[31:32], v[51:52]
	v_fma_f64 v[10:11], v[10:11], v[29:30], -v[45:46]
	v_fma_f64 v[8:9], v[8:9], v[29:30], v[47:48]
	v_add_co_u32 v65, vcc_lo, v112, v2
	s_wait_alu 0xfffd
	v_add_co_ci_u32_e32 v66, vcc_lo, v113, v3, vcc_lo
	v_fma_f64 v[30:31], v[83:84], v[73:74], -v[59:60]
	v_fma_f64 v[2:3], v[91:92], v[35:36], -v[37:38]
	v_mov_b32_e32 v90, v110
	v_lshlrev_b64_e32 v[69:70], 4, v[71:72]
	v_lshlrev_b64_e32 v[75:76], 4, v[93:94]
	s_delay_alu instid0(VALU_DEP_3)
	v_lshlrev_b64_e32 v[71:72], 4, v[89:90]
	v_fma_f64 v[18:19], v[99:100], v[23:24], -v[53:54]
	v_fma_f64 v[16:17], v[97:98], v[23:24], v[25:26]
	v_fma_f64 v[22:23], v[103:104], v[27:28], -v[55:56]
	v_fma_f64 v[20:21], v[101:102], v[27:28], v[0:1]
	v_fma_f64 v[26:27], v[107:108], v[63:64], -v[57:58]
	v_fma_f64 v[24:25], v[105:106], v[63:64], v[41:42]
	v_fma_f64 v[28:29], v[95:96], v[73:74], v[61:62]
	v_fma_f64 v[0:1], v[125:126], v[35:36], v[33:34]
	v_add_co_u32 v36, vcc_lo, v112, v67
	s_wait_alu 0xfffd
	v_add_co_ci_u32_e32 v37, vcc_lo, v113, v68, vcc_lo
	v_add_co_u32 v38, vcc_lo, v112, v69
	s_wait_alu 0xfffd
	v_add_co_ci_u32_e32 v39, vcc_lo, v113, v70, vcc_lo
	;; [unrolled: 3-line block ×3, first 2 shown]
	v_lshlrev_b64_e32 v[32:33], 4, v[131:132]
	v_add_co_u32 v42, vcc_lo, v112, v75
	s_wait_alu 0xfffd
	v_add_co_ci_u32_e32 v43, vcc_lo, v113, v76, vcc_lo
	v_lshlrev_b64_e32 v[34:35], 4, v[133:134]
	v_add_co_u32 v44, vcc_lo, v112, v77
	s_wait_alu 0xfffd
	v_add_co_ci_u32_e32 v45, vcc_lo, v113, v78, vcc_lo
	v_add_co_u32 v32, vcc_lo, v112, v32
	s_wait_alu 0xfffd
	v_add_co_ci_u32_e32 v33, vcc_lo, v113, v33, vcc_lo
	;; [unrolled: 3-line block ×3, first 2 shown]
	s_clause 0x7
	global_store_b128 v[65:66], v[16:19], off
	global_store_b128 v[36:37], v[12:15], off
	global_store_b128 v[38:39], v[20:23], off
	global_store_b128 v[44:45], v[8:11], off
	global_store_b128 v[40:41], v[24:27], off
	global_store_b128 v[32:33], v[4:7], off
	global_store_b128 v[42:43], v[28:31], off
	global_store_b128 v[34:35], v[0:3], off
.LBB0_14:
	s_nop 0
	s_sendmsg sendmsg(MSG_DEALLOC_VGPRS)
	s_endpgm
	.section	.rodata,"a",@progbits
	.p2align	6, 0x0
	.amdhsa_kernel fft_rtc_back_len208_factors_13_8_2_wgs_234_tpt_26_dim3_dp_ip_CI_sbcc_twdbase8_2step_dirReg
		.amdhsa_group_segment_fixed_size 0
		.amdhsa_private_segment_fixed_size 0
		.amdhsa_kernarg_size 88
		.amdhsa_user_sgpr_count 2
		.amdhsa_user_sgpr_dispatch_ptr 0
		.amdhsa_user_sgpr_queue_ptr 0
		.amdhsa_user_sgpr_kernarg_segment_ptr 1
		.amdhsa_user_sgpr_dispatch_id 0
		.amdhsa_user_sgpr_private_segment_size 0
		.amdhsa_wavefront_size32 1
		.amdhsa_uses_dynamic_stack 0
		.amdhsa_enable_private_segment 0
		.amdhsa_system_sgpr_workgroup_id_x 1
		.amdhsa_system_sgpr_workgroup_id_y 0
		.amdhsa_system_sgpr_workgroup_id_z 0
		.amdhsa_system_sgpr_workgroup_info 0
		.amdhsa_system_vgpr_workitem_id 0
		.amdhsa_next_free_vgpr 214
		.amdhsa_next_free_sgpr 51
		.amdhsa_reserve_vcc 1
		.amdhsa_float_round_mode_32 0
		.amdhsa_float_round_mode_16_64 0
		.amdhsa_float_denorm_mode_32 3
		.amdhsa_float_denorm_mode_16_64 3
		.amdhsa_fp16_overflow 0
		.amdhsa_workgroup_processor_mode 1
		.amdhsa_memory_ordered 1
		.amdhsa_forward_progress 0
		.amdhsa_round_robin_scheduling 0
		.amdhsa_exception_fp_ieee_invalid_op 0
		.amdhsa_exception_fp_denorm_src 0
		.amdhsa_exception_fp_ieee_div_zero 0
		.amdhsa_exception_fp_ieee_overflow 0
		.amdhsa_exception_fp_ieee_underflow 0
		.amdhsa_exception_fp_ieee_inexact 0
		.amdhsa_exception_int_div_zero 0
	.end_amdhsa_kernel
	.text
.Lfunc_end0:
	.size	fft_rtc_back_len208_factors_13_8_2_wgs_234_tpt_26_dim3_dp_ip_CI_sbcc_twdbase8_2step_dirReg, .Lfunc_end0-fft_rtc_back_len208_factors_13_8_2_wgs_234_tpt_26_dim3_dp_ip_CI_sbcc_twdbase8_2step_dirReg
                                        ; -- End function
	.section	.AMDGPU.csdata,"",@progbits
; Kernel info:
; codeLenInByte = 8860
; NumSgprs: 53
; NumVgprs: 214
; ScratchSize: 0
; MemoryBound: 1
; FloatMode: 240
; IeeeMode: 1
; LDSByteSize: 0 bytes/workgroup (compile time only)
; SGPRBlocks: 6
; VGPRBlocks: 26
; NumSGPRsForWavesPerEU: 53
; NumVGPRsForWavesPerEU: 214
; Occupancy: 7
; WaveLimiterHint : 1
; COMPUTE_PGM_RSRC2:SCRATCH_EN: 0
; COMPUTE_PGM_RSRC2:USER_SGPR: 2
; COMPUTE_PGM_RSRC2:TRAP_HANDLER: 0
; COMPUTE_PGM_RSRC2:TGID_X_EN: 1
; COMPUTE_PGM_RSRC2:TGID_Y_EN: 0
; COMPUTE_PGM_RSRC2:TGID_Z_EN: 0
; COMPUTE_PGM_RSRC2:TIDIG_COMP_CNT: 0
	.text
	.p2alignl 7, 3214868480
	.fill 96, 4, 3214868480
	.type	__hip_cuid_1313f9f5d5958e7c,@object ; @__hip_cuid_1313f9f5d5958e7c
	.section	.bss,"aw",@nobits
	.globl	__hip_cuid_1313f9f5d5958e7c
__hip_cuid_1313f9f5d5958e7c:
	.byte	0                               ; 0x0
	.size	__hip_cuid_1313f9f5d5958e7c, 1

	.ident	"AMD clang version 19.0.0git (https://github.com/RadeonOpenCompute/llvm-project roc-6.4.0 25133 c7fe45cf4b819c5991fe208aaa96edf142730f1d)"
	.section	".note.GNU-stack","",@progbits
	.addrsig
	.addrsig_sym __hip_cuid_1313f9f5d5958e7c
	.amdgpu_metadata
---
amdhsa.kernels:
  - .args:
      - .actual_access:  read_only
        .address_space:  global
        .offset:         0
        .size:           8
        .value_kind:     global_buffer
      - .address_space:  global
        .offset:         8
        .size:           8
        .value_kind:     global_buffer
      - .actual_access:  read_only
        .address_space:  global
        .offset:         16
        .size:           8
        .value_kind:     global_buffer
      - .actual_access:  read_only
        .address_space:  global
        .offset:         24
        .size:           8
        .value_kind:     global_buffer
      - .offset:         32
        .size:           8
        .value_kind:     by_value
      - .actual_access:  read_only
        .address_space:  global
        .offset:         40
        .size:           8
        .value_kind:     global_buffer
      - .actual_access:  read_only
        .address_space:  global
        .offset:         48
        .size:           8
        .value_kind:     global_buffer
      - .offset:         56
        .size:           4
        .value_kind:     by_value
      - .actual_access:  read_only
        .address_space:  global
        .offset:         64
        .size:           8
        .value_kind:     global_buffer
      - .actual_access:  read_only
        .address_space:  global
        .offset:         72
        .size:           8
        .value_kind:     global_buffer
      - .address_space:  global
        .offset:         80
        .size:           8
        .value_kind:     global_buffer
    .group_segment_fixed_size: 0
    .kernarg_segment_align: 8
    .kernarg_segment_size: 88
    .language:       OpenCL C
    .language_version:
      - 2
      - 0
    .max_flat_workgroup_size: 234
    .name:           fft_rtc_back_len208_factors_13_8_2_wgs_234_tpt_26_dim3_dp_ip_CI_sbcc_twdbase8_2step_dirReg
    .private_segment_fixed_size: 0
    .sgpr_count:     53
    .sgpr_spill_count: 0
    .symbol:         fft_rtc_back_len208_factors_13_8_2_wgs_234_tpt_26_dim3_dp_ip_CI_sbcc_twdbase8_2step_dirReg.kd
    .uniform_work_group_size: 1
    .uses_dynamic_stack: false
    .vgpr_count:     214
    .vgpr_spill_count: 0
    .wavefront_size: 32
    .workgroup_processor_mode: 1
amdhsa.target:   amdgcn-amd-amdhsa--gfx1201
amdhsa.version:
  - 1
  - 2
...

	.end_amdgpu_metadata
